;; amdgpu-corpus repo=ROCm/rocFFT kind=compiled arch=gfx1030 opt=O3
	.text
	.amdgcn_target "amdgcn-amd-amdhsa--gfx1030"
	.amdhsa_code_object_version 6
	.protected	fft_rtc_fwd_len676_factors_13_13_4_wgs_52_tpt_52_dp_ip_CI_unitstride_sbrr_dirReg ; -- Begin function fft_rtc_fwd_len676_factors_13_13_4_wgs_52_tpt_52_dp_ip_CI_unitstride_sbrr_dirReg
	.globl	fft_rtc_fwd_len676_factors_13_13_4_wgs_52_tpt_52_dp_ip_CI_unitstride_sbrr_dirReg
	.p2align	8
	.type	fft_rtc_fwd_len676_factors_13_13_4_wgs_52_tpt_52_dp_ip_CI_unitstride_sbrr_dirReg,@function
fft_rtc_fwd_len676_factors_13_13_4_wgs_52_tpt_52_dp_ip_CI_unitstride_sbrr_dirReg: ; @fft_rtc_fwd_len676_factors_13_13_4_wgs_52_tpt_52_dp_ip_CI_unitstride_sbrr_dirReg
; %bb.0:
	s_clause 0x2
	s_load_dwordx4 s[8:11], s[4:5], 0x0
	s_load_dwordx2 s[2:3], s[4:5], 0x50
	s_load_dwordx2 s[12:13], s[4:5], 0x18
	v_mul_u32_u24_e32 v1, 0x4ed, v0
	v_mov_b32_e32 v3, 0
	v_add_nc_u32_sdwa v5, s6, v1 dst_sel:DWORD dst_unused:UNUSED_PAD src0_sel:DWORD src1_sel:WORD_1
	v_mov_b32_e32 v1, 0
	v_mov_b32_e32 v6, v3
	v_mov_b32_e32 v2, 0
	s_waitcnt lgkmcnt(0)
	v_cmp_lt_u64_e64 s0, s[10:11], 2
	s_and_b32 vcc_lo, exec_lo, s0
	s_cbranch_vccnz .LBB0_8
; %bb.1:
	s_load_dwordx2 s[0:1], s[4:5], 0x10
	v_mov_b32_e32 v1, 0
	s_add_u32 s6, s12, 8
	v_mov_b32_e32 v2, 0
	s_addc_u32 s7, s13, 0
	s_mov_b64 s[16:17], 1
	s_waitcnt lgkmcnt(0)
	s_add_u32 s14, s0, 8
	s_addc_u32 s15, s1, 0
.LBB0_2:                                ; =>This Inner Loop Header: Depth=1
	s_load_dwordx2 s[18:19], s[14:15], 0x0
                                        ; implicit-def: $vgpr7_vgpr8
	s_mov_b32 s0, exec_lo
	s_waitcnt lgkmcnt(0)
	v_or_b32_e32 v4, s19, v6
	v_cmpx_ne_u64_e32 0, v[3:4]
	s_xor_b32 s1, exec_lo, s0
	s_cbranch_execz .LBB0_4
; %bb.3:                                ;   in Loop: Header=BB0_2 Depth=1
	v_cvt_f32_u32_e32 v4, s18
	v_cvt_f32_u32_e32 v7, s19
	s_sub_u32 s0, 0, s18
	s_subb_u32 s20, 0, s19
	v_fmac_f32_e32 v4, 0x4f800000, v7
	v_rcp_f32_e32 v4, v4
	v_mul_f32_e32 v4, 0x5f7ffffc, v4
	v_mul_f32_e32 v7, 0x2f800000, v4
	v_trunc_f32_e32 v7, v7
	v_fmac_f32_e32 v4, 0xcf800000, v7
	v_cvt_u32_f32_e32 v7, v7
	v_cvt_u32_f32_e32 v4, v4
	v_mul_lo_u32 v8, s0, v7
	v_mul_hi_u32 v9, s0, v4
	v_mul_lo_u32 v10, s20, v4
	v_add_nc_u32_e32 v8, v9, v8
	v_mul_lo_u32 v9, s0, v4
	v_add_nc_u32_e32 v8, v8, v10
	v_mul_hi_u32 v10, v4, v9
	v_mul_lo_u32 v11, v4, v8
	v_mul_hi_u32 v12, v4, v8
	v_mul_hi_u32 v13, v7, v9
	v_mul_lo_u32 v9, v7, v9
	v_mul_hi_u32 v14, v7, v8
	v_mul_lo_u32 v8, v7, v8
	v_add_co_u32 v10, vcc_lo, v10, v11
	v_add_co_ci_u32_e32 v11, vcc_lo, 0, v12, vcc_lo
	v_add_co_u32 v9, vcc_lo, v10, v9
	v_add_co_ci_u32_e32 v9, vcc_lo, v11, v13, vcc_lo
	v_add_co_ci_u32_e32 v10, vcc_lo, 0, v14, vcc_lo
	v_add_co_u32 v8, vcc_lo, v9, v8
	v_add_co_ci_u32_e32 v9, vcc_lo, 0, v10, vcc_lo
	v_add_co_u32 v4, vcc_lo, v4, v8
	v_add_co_ci_u32_e32 v7, vcc_lo, v7, v9, vcc_lo
	v_mul_hi_u32 v8, s0, v4
	v_mul_lo_u32 v10, s20, v4
	v_mul_lo_u32 v9, s0, v7
	v_add_nc_u32_e32 v8, v8, v9
	v_mul_lo_u32 v9, s0, v4
	v_add_nc_u32_e32 v8, v8, v10
	v_mul_hi_u32 v10, v4, v9
	v_mul_lo_u32 v11, v4, v8
	v_mul_hi_u32 v12, v4, v8
	v_mul_hi_u32 v13, v7, v9
	v_mul_lo_u32 v9, v7, v9
	v_mul_hi_u32 v14, v7, v8
	v_mul_lo_u32 v8, v7, v8
	v_add_co_u32 v10, vcc_lo, v10, v11
	v_add_co_ci_u32_e32 v11, vcc_lo, 0, v12, vcc_lo
	v_add_co_u32 v9, vcc_lo, v10, v9
	v_add_co_ci_u32_e32 v9, vcc_lo, v11, v13, vcc_lo
	v_add_co_ci_u32_e32 v10, vcc_lo, 0, v14, vcc_lo
	v_add_co_u32 v8, vcc_lo, v9, v8
	v_add_co_ci_u32_e32 v9, vcc_lo, 0, v10, vcc_lo
	v_add_co_u32 v4, vcc_lo, v4, v8
	v_add_co_ci_u32_e32 v11, vcc_lo, v7, v9, vcc_lo
	v_mul_hi_u32 v13, v5, v4
	v_mad_u64_u32 v[9:10], null, v6, v4, 0
	v_mad_u64_u32 v[7:8], null, v5, v11, 0
	;; [unrolled: 1-line block ×3, first 2 shown]
	v_add_co_u32 v4, vcc_lo, v13, v7
	v_add_co_ci_u32_e32 v7, vcc_lo, 0, v8, vcc_lo
	v_add_co_u32 v4, vcc_lo, v4, v9
	v_add_co_ci_u32_e32 v4, vcc_lo, v7, v10, vcc_lo
	v_add_co_ci_u32_e32 v7, vcc_lo, 0, v12, vcc_lo
	v_add_co_u32 v4, vcc_lo, v4, v11
	v_add_co_ci_u32_e32 v9, vcc_lo, 0, v7, vcc_lo
	v_mul_lo_u32 v10, s19, v4
	v_mad_u64_u32 v[7:8], null, s18, v4, 0
	v_mul_lo_u32 v11, s18, v9
	v_sub_co_u32 v7, vcc_lo, v5, v7
	v_add3_u32 v8, v8, v11, v10
	v_sub_nc_u32_e32 v10, v6, v8
	v_subrev_co_ci_u32_e64 v10, s0, s19, v10, vcc_lo
	v_add_co_u32 v11, s0, v4, 2
	v_add_co_ci_u32_e64 v12, s0, 0, v9, s0
	v_sub_co_u32 v13, s0, v7, s18
	v_sub_co_ci_u32_e32 v8, vcc_lo, v6, v8, vcc_lo
	v_subrev_co_ci_u32_e64 v10, s0, 0, v10, s0
	v_cmp_le_u32_e32 vcc_lo, s18, v13
	v_cmp_eq_u32_e64 s0, s19, v8
	v_cndmask_b32_e64 v13, 0, -1, vcc_lo
	v_cmp_le_u32_e32 vcc_lo, s19, v10
	v_cndmask_b32_e64 v14, 0, -1, vcc_lo
	v_cmp_le_u32_e32 vcc_lo, s18, v7
	;; [unrolled: 2-line block ×3, first 2 shown]
	v_cndmask_b32_e64 v15, 0, -1, vcc_lo
	v_cmp_eq_u32_e32 vcc_lo, s19, v10
	v_cndmask_b32_e64 v7, v15, v7, s0
	v_cndmask_b32_e32 v10, v14, v13, vcc_lo
	v_add_co_u32 v13, vcc_lo, v4, 1
	v_add_co_ci_u32_e32 v14, vcc_lo, 0, v9, vcc_lo
	v_cmp_ne_u32_e32 vcc_lo, 0, v10
	v_cndmask_b32_e32 v8, v14, v12, vcc_lo
	v_cndmask_b32_e32 v10, v13, v11, vcc_lo
	v_cmp_ne_u32_e32 vcc_lo, 0, v7
	v_cndmask_b32_e32 v8, v9, v8, vcc_lo
	v_cndmask_b32_e32 v7, v4, v10, vcc_lo
.LBB0_4:                                ;   in Loop: Header=BB0_2 Depth=1
	s_andn2_saveexec_b32 s0, s1
	s_cbranch_execz .LBB0_6
; %bb.5:                                ;   in Loop: Header=BB0_2 Depth=1
	v_cvt_f32_u32_e32 v4, s18
	s_sub_i32 s1, 0, s18
	v_rcp_iflag_f32_e32 v4, v4
	v_mul_f32_e32 v4, 0x4f7ffffe, v4
	v_cvt_u32_f32_e32 v4, v4
	v_mul_lo_u32 v7, s1, v4
	v_mul_hi_u32 v7, v4, v7
	v_add_nc_u32_e32 v4, v4, v7
	v_mul_hi_u32 v4, v5, v4
	v_mul_lo_u32 v7, v4, s18
	v_add_nc_u32_e32 v8, 1, v4
	v_sub_nc_u32_e32 v7, v5, v7
	v_subrev_nc_u32_e32 v9, s18, v7
	v_cmp_le_u32_e32 vcc_lo, s18, v7
	v_cndmask_b32_e32 v7, v7, v9, vcc_lo
	v_cndmask_b32_e32 v4, v4, v8, vcc_lo
	v_cmp_le_u32_e32 vcc_lo, s18, v7
	v_add_nc_u32_e32 v8, 1, v4
	v_cndmask_b32_e32 v7, v4, v8, vcc_lo
	v_mov_b32_e32 v8, v3
.LBB0_6:                                ;   in Loop: Header=BB0_2 Depth=1
	s_or_b32 exec_lo, exec_lo, s0
	s_load_dwordx2 s[0:1], s[6:7], 0x0
	v_mul_lo_u32 v4, v8, s18
	v_mul_lo_u32 v11, v7, s19
	v_mad_u64_u32 v[9:10], null, v7, s18, 0
	s_add_u32 s16, s16, 1
	s_addc_u32 s17, s17, 0
	s_add_u32 s6, s6, 8
	s_addc_u32 s7, s7, 0
	;; [unrolled: 2-line block ×3, first 2 shown]
	v_add3_u32 v4, v10, v11, v4
	v_sub_co_u32 v5, vcc_lo, v5, v9
	v_sub_co_ci_u32_e32 v4, vcc_lo, v6, v4, vcc_lo
	s_waitcnt lgkmcnt(0)
	v_mul_lo_u32 v6, s1, v5
	v_mul_lo_u32 v4, s0, v4
	v_mad_u64_u32 v[1:2], null, s0, v5, v[1:2]
	v_cmp_ge_u64_e64 s0, s[16:17], s[10:11]
	s_and_b32 vcc_lo, exec_lo, s0
	v_add3_u32 v2, v6, v2, v4
	s_cbranch_vccnz .LBB0_9
; %bb.7:                                ;   in Loop: Header=BB0_2 Depth=1
	v_mov_b32_e32 v5, v7
	v_mov_b32_e32 v6, v8
	s_branch .LBB0_2
.LBB0_8:
	v_mov_b32_e32 v8, v6
	v_mov_b32_e32 v7, v5
.LBB0_9:
	s_lshl_b64 s[0:1], s[10:11], 3
	v_mul_hi_u32 v5, 0x4ec4ec5, v0
	s_add_u32 s0, s12, s0
	s_addc_u32 s1, s13, s1
                                        ; implicit-def: $vgpr42_vgpr43
                                        ; implicit-def: $vgpr46_vgpr47
                                        ; implicit-def: $vgpr34_vgpr35
                                        ; implicit-def: $vgpr30_vgpr31
                                        ; implicit-def: $vgpr18_vgpr19
                                        ; implicit-def: $vgpr14_vgpr15
                                        ; implicit-def: $vgpr10_vgpr11
                                        ; implicit-def: $vgpr22_vgpr23
                                        ; implicit-def: $vgpr26_vgpr27
                                        ; implicit-def: $vgpr38_vgpr39
                                        ; implicit-def: $vgpr50_vgpr51
	s_load_dwordx2 s[0:1], s[0:1], 0x0
	s_load_dwordx2 s[4:5], s[4:5], 0x20
	s_waitcnt lgkmcnt(0)
	v_mul_lo_u32 v3, s0, v8
	v_mul_lo_u32 v4, s1, v7
	v_mad_u64_u32 v[1:2], null, s0, v7, v[1:2]
	v_cmp_gt_u64_e32 vcc_lo, s[4:5], v[7:8]
                                        ; implicit-def: $vgpr6_vgpr7
	v_add3_u32 v2, v4, v2, v3
	v_mul_u32_u24_e32 v3, 52, v5
	v_lshlrev_b64 v[66:67], 4, v[1:2]
	v_sub_nc_u32_e32 v64, v0, v3
                                        ; implicit-def: $vgpr2_vgpr3
	s_and_saveexec_b32 s1, vcc_lo
	s_cbranch_execz .LBB0_11
; %bb.10:
	v_mov_b32_e32 v65, 0
	v_add_co_u32 v2, s0, s2, v66
	v_add_co_ci_u32_e64 v3, s0, s3, v67, s0
	v_lshlrev_b64 v[0:1], 4, v[64:65]
	v_add_co_u32 v0, s0, v2, v0
	v_add_co_ci_u32_e64 v1, s0, v3, v1, s0
	v_add_co_u32 v2, s0, 0x800, v0
	v_add_co_ci_u32_e64 v3, s0, 0, v1, s0
	v_add_co_u32 v8, s0, 0x1000, v0
	v_add_co_ci_u32_e64 v9, s0, 0, v1, s0
	s_clause 0x5
	global_load_dwordx4 v[4:7], v[0:1], off
	global_load_dwordx4 v[40:43], v[0:1], off offset:832
	global_load_dwordx4 v[44:47], v[0:1], off offset:1664
	;; [unrolled: 1-line block ×5, first 2 shown]
	v_add_co_u32 v2, s0, 0x1800, v0
	v_add_co_ci_u32_e64 v3, s0, 0, v1, s0
	v_add_co_u32 v0, s0, 0x2000, v0
	v_add_co_ci_u32_e64 v1, s0, 0, v1, s0
	s_clause 0x6
	global_load_dwordx4 v[28:31], v[8:9], off offset:896
	global_load_dwordx4 v[24:27], v[8:9], off offset:1728
	;; [unrolled: 1-line block ×7, first 2 shown]
.LBB0_11:
	s_or_b32 exec_lo, exec_lo, s1
	s_waitcnt vmcnt(11)
	v_add_f64 v[94:95], v[40:41], v[4:5]
	v_add_f64 v[96:97], v[42:43], v[6:7]
	s_waitcnt vmcnt(2)
	v_add_f64 v[88:89], v[12:13], v[48:49]
	v_add_f64 v[86:87], v[48:49], -v[12:13]
	s_waitcnt vmcnt(1)
	v_add_f64 v[92:93], v[44:45], v[8:9]
	v_add_f64 v[84:85], v[46:47], v[10:11]
	v_add_f64 v[90:91], v[44:45], -v[8:9]
	s_waitcnt vmcnt(0)
	v_add_f64 v[98:99], v[42:43], v[2:3]
	v_add_f64 v[100:101], v[42:43], -v[2:3]
	s_mov_b32 s6, 0xe00740e9
	s_mov_b32 s16, 0x4267c47c
	;; [unrolled: 1-line block ×6, first 2 shown]
	v_add_f64 v[80:81], v[16:17], v[36:37]
	v_add_f64 v[82:83], v[36:37], -v[16:17]
	s_mov_b32 s0, 0x1ea71119
	s_mov_b32 s20, 0x42a4c3d2
	;; [unrolled: 1-line block ×5, first 2 shown]
	v_add_f64 v[94:95], v[44:45], v[94:95]
	v_add_f64 v[96:97], v[46:47], v[96:97]
	v_add_f64 v[44:45], v[46:47], -v[10:11]
	v_add_f64 v[46:47], v[40:41], v[0:1]
	v_add_f64 v[40:41], v[40:41], -v[0:1]
	s_mov_b32 s26, s20
	v_add_f64 v[76:77], v[14:15], v[50:51]
	v_add_f64 v[78:79], v[50:51], -v[14:15]
	s_mov_b32 s4, 0xebaa3ed8
	s_mov_b32 s12, 0x66966769
	;; [unrolled: 1-line block ×14, first 2 shown]
	v_add_f64 v[42:43], v[48:49], v[94:95]
	v_add_f64 v[48:49], v[50:51], v[96:97]
	v_mul_f64 v[50:51], v[92:93], s[0:1]
	v_mul_f64 v[96:97], v[46:47], s[6:7]
	;; [unrolled: 1-line block ×5, first 2 shown]
	s_mov_b32 s30, s12
	s_mov_b32 s22, s34
	v_add_f64 v[60:61], v[28:29], v[24:25]
	v_add_f64 v[52:53], v[30:31], v[26:27]
	v_add_f64 v[62:63], v[28:29], -v[24:25]
	v_add_f64 v[54:55], v[30:31], -v[26:27]
	v_mul_f64 v[108:109], v[46:47], s[4:5]
	v_mul_f64 v[110:111], v[46:47], s[10:11]
	;; [unrolled: 1-line block ×7, first 2 shown]
	s_mov_b32 s36, 0x24c2f84
	s_mov_b32 s24, 0x4bc48dbf
	v_add_f64 v[36:37], v[36:37], v[42:43]
	v_add_f64 v[94:95], v[38:39], v[48:49]
	v_mul_f64 v[48:49], v[90:91], s[26:27]
	v_fma_f64 v[106:107], v[100:101], s[16:17], v[96:97]
	v_fma_f64 v[114:115], v[98:99], s[6:7], v[102:103]
	v_mul_f64 v[42:43], v[88:89], s[4:5]
	v_fma_f64 v[134:135], v[44:45], s[20:21], v[50:51]
	v_fma_f64 v[142:143], v[100:101], s[20:21], v[104:105]
	;; [unrolled: 1-line block ×3, first 2 shown]
	s_mov_b32 s37, 0x3fe5384d
	s_mov_b32 s29, 0xbfe5384d
	;; [unrolled: 1-line block ×6, first 2 shown]
	v_add_f64 v[72:73], v[32:33], v[20:21]
	v_add_f64 v[74:75], v[32:33], -v[20:21]
	v_add_f64 v[68:69], v[18:19], v[38:39]
	v_add_f64 v[70:71], v[38:39], -v[18:19]
	v_mul_f64 v[120:121], v[40:41], s[30:31]
	v_mul_f64 v[122:123], v[40:41], s[22:23]
	;; [unrolled: 1-line block ×3, first 2 shown]
	v_add_f64 v[128:129], v[32:33], v[36:37]
	v_add_f64 v[130:131], v[34:35], v[94:95]
	v_fma_f64 v[140:141], v[84:85], s[0:1], v[48:49]
	v_add_f64 v[106:107], v[106:107], v[4:5]
	v_add_f64 v[114:115], v[114:115], v[6:7]
	v_mul_f64 v[126:127], v[40:41], s[38:39]
	v_mul_f64 v[38:39], v[80:81], s[10:11]
	;; [unrolled: 1-line block ×5, first 2 shown]
	v_fma_f64 v[156:157], v[78:79], s[12:13], v[42:43]
	v_fma_f64 v[158:159], v[76:77], s[4:5], v[46:47]
	;; [unrolled: 1-line block ×3, first 2 shown]
	v_add_f64 v[146:147], v[146:147], v[6:7]
	v_add_f64 v[56:57], v[34:35], v[22:23]
	v_add_f64 v[58:59], v[34:35], -v[22:23]
	v_mul_f64 v[34:35], v[72:73], s[14:15]
	v_mul_f64 v[36:37], v[74:75], s[28:29]
	;; [unrolled: 1-line block ×4, first 2 shown]
	v_fma_f64 v[96:97], v[100:101], s[40:41], v[96:97]
	v_fma_f64 v[104:105], v[100:101], s[26:27], v[104:105]
	v_add_f64 v[28:29], v[28:29], v[128:129]
	v_add_f64 v[30:31], v[30:31], v[130:131]
	v_fma_f64 v[128:129], v[100:101], s[12:13], v[108:109]
	v_add_f64 v[106:107], v[134:135], v[106:107]
	v_add_f64 v[114:115], v[140:141], v[114:115]
	;; [unrolled: 1-line block ×3, first 2 shown]
	v_fma_f64 v[142:143], v[84:85], s[10:11], v[136:137]
	v_fma_f64 v[108:109], v[100:101], s[30:31], v[108:109]
	;; [unrolled: 1-line block ×8, first 2 shown]
	v_fma_f64 v[102:103], v[98:99], s[6:7], -v[102:103]
	v_fma_f64 v[116:117], v[98:99], s[0:1], -v[118:119]
	v_fma_f64 v[164:165], v[70:71], s[34:35], v[38:39]
	v_fma_f64 v[166:167], v[68:69], s[10:11], v[40:41]
	;; [unrolled: 1-line block ×3, first 2 shown]
	v_mul_f64 v[32:33], v[60:61], s[18:19]
	v_mul_f64 v[94:95], v[62:63], s[38:39]
	;; [unrolled: 1-line block ×3, first 2 shown]
	v_add_f64 v[24:25], v[24:25], v[28:29]
	v_add_f64 v[26:27], v[26:27], v[30:31]
	v_mul_f64 v[154:155], v[74:75], s[12:13]
	v_add_f64 v[106:107], v[156:157], v[106:107]
	v_add_f64 v[114:115], v[158:159], v[114:115]
	v_add_f64 v[140:141], v[160:161], v[140:141]
	v_fma_f64 v[158:159], v[76:77], s[18:19], v[144:145]
	v_add_f64 v[142:143], v[142:143], v[146:147]
	v_fma_f64 v[118:119], v[98:99], s[4:5], v[120:121]
	v_fma_f64 v[28:29], v[98:99], s[4:5], -v[120:121]
	v_fma_f64 v[30:31], v[98:99], s[10:11], v[122:123]
	v_fma_f64 v[120:121], v[98:99], s[10:11], -v[122:123]
	;; [unrolled: 2-line block ×4, first 2 shown]
	v_fma_f64 v[126:127], v[58:59], s[36:37], v[34:35]
	v_fma_f64 v[146:147], v[56:57], s[14:15], v[36:37]
	;; [unrolled: 1-line block ×5, first 2 shown]
	v_add_f64 v[108:109], v[108:109], v[4:5]
	v_add_f64 v[20:21], v[20:21], v[24:25]
	;; [unrolled: 1-line block ×3, first 2 shown]
	v_fma_f64 v[24:25], v[84:85], s[10:11], -v[136:137]
	v_add_f64 v[26:27], v[96:97], v[4:5]
	v_add_f64 v[96:97], v[102:103], v[6:7]
	v_add_f64 v[102:103], v[104:105], v[4:5]
	v_add_f64 v[104:105], v[116:117], v[6:7]
	v_add_f64 v[116:117], v[128:129], v[4:5]
	v_add_f64 v[106:107], v[164:165], v[106:107]
	v_add_f64 v[114:115], v[166:167], v[114:115]
	v_add_f64 v[128:129], v[168:169], v[140:141]
	v_add_f64 v[136:137], v[158:159], v[142:143]
	v_fma_f64 v[138:139], v[78:79], s[38:39], v[138:139]
	v_mul_f64 v[158:159], v[92:93], s[14:15]
	v_add_f64 v[142:143], v[156:157], v[6:7]
	v_fma_f64 v[156:157], v[54:55], s[24:25], v[32:33]
	v_fma_f64 v[144:145], v[76:77], s[18:19], -v[144:145]
	v_mul_f64 v[164:165], v[88:89], s[10:11]
	v_add_f64 v[118:119], v[118:119], v[6:7]
	v_add_f64 v[28:29], v[28:29], v[6:7]
	;; [unrolled: 1-line block ×6, first 2 shown]
	v_mul_f64 v[20:21], v[92:93], s[18:19]
	v_add_f64 v[22:23], v[124:125], v[6:7]
	v_mul_f64 v[124:125], v[90:91], s[38:39]
	v_add_f64 v[102:103], v[132:133], v[102:103]
	v_fma_f64 v[132:133], v[58:59], s[30:31], v[152:153]
	v_add_f64 v[24:25], v[24:25], v[104:105]
	v_add_f64 v[106:107], v[126:127], v[106:107]
	v_fma_f64 v[126:127], v[52:53], s[18:19], v[94:95]
	v_add_f64 v[114:115], v[146:147], v[114:115]
	v_add_f64 v[128:129], v[160:161], v[128:129]
	;; [unrolled: 1-line block ×3, first 2 shown]
	v_fma_f64 v[146:147], v[56:57], s[4:5], v[154:155]
	v_mul_f64 v[104:105], v[90:91], s[36:37]
	v_add_f64 v[110:111], v[110:111], v[4:5]
	v_add_f64 v[120:121], v[120:121], v[6:7]
	;; [unrolled: 1-line block ×9, first 2 shown]
	v_fma_f64 v[18:19], v[44:45], s[38:39], v[20:21]
	v_mul_f64 v[160:161], v[60:61], s[6:7]
	v_fma_f64 v[162:163], v[44:45], s[24:25], v[20:21]
	v_fma_f64 v[166:167], v[84:85], s[18:19], v[124:125]
	v_mul_f64 v[168:169], v[86:87], s[34:35]
	v_add_f64 v[12:13], v[12:13], v[16:17]
	v_mul_f64 v[16:17], v[62:63], s[16:17]
	v_add_f64 v[4:5], v[156:157], v[106:107]
	v_add_f64 v[20:21], v[138:139], v[102:103]
	v_fma_f64 v[102:103], v[70:71], s[36:37], v[148:149]
	v_add_f64 v[6:7], v[126:127], v[114:115]
	v_add_f64 v[106:107], v[132:133], v[128:129]
	v_fma_f64 v[114:115], v[84:85], s[18:19], -v[124:125]
	v_add_f64 v[124:125], v[146:147], v[136:137]
	v_fma_f64 v[126:127], v[44:45], s[28:29], v[158:159]
	v_mul_f64 v[128:129], v[88:89], s[6:7]
	v_add_f64 v[24:25], v[144:145], v[24:25]
	v_fma_f64 v[132:133], v[68:69], s[14:15], -v[150:151]
	v_fma_f64 v[136:137], v[84:85], s[14:15], v[104:105]
	v_mul_f64 v[138:139], v[86:87], s[16:17]
	v_mul_f64 v[150:151], v[80:81], s[6:7]
	v_fma_f64 v[146:147], v[78:79], s[22:23], v[164:165]
	v_add_f64 v[18:19], v[18:19], v[108:109]
	v_fma_f64 v[108:109], v[78:79], s[34:35], v[164:165]
	v_fma_f64 v[144:145], v[54:55], s[40:41], v[160:161]
	v_add_f64 v[116:117], v[162:163], v[116:117]
	v_add_f64 v[118:119], v[166:167], v[118:119]
	v_fma_f64 v[148:149], v[76:77], s[10:11], v[168:169]
	v_mul_f64 v[156:157], v[82:83], s[16:17]
	v_fma_f64 v[162:163], v[52:53], s[6:7], v[16:17]
	v_fma_f64 v[158:159], v[44:45], s[36:37], v[158:159]
	v_add_f64 v[20:21], v[102:103], v[20:21]
	v_fma_f64 v[102:103], v[76:77], s[10:11], -v[168:169]
	v_mul_f64 v[164:165], v[72:73], s[0:1]
	v_add_f64 v[28:29], v[114:115], v[28:29]
	v_fma_f64 v[104:105], v[84:85], s[14:15], -v[104:105]
	v_add_f64 v[114:115], v[126:127], v[130:131]
	v_fma_f64 v[126:127], v[78:79], s[40:41], v[128:129]
	v_mul_f64 v[130:131], v[80:81], s[4:5]
	v_add_f64 v[24:25], v[132:133], v[24:25]
	v_add_f64 v[30:31], v[136:137], v[30:31]
	v_fma_f64 v[132:133], v[76:77], s[6:7], v[138:139]
	v_fma_f64 v[136:137], v[56:57], s[4:5], -v[154:155]
	v_mul_f64 v[154:155], v[82:83], s[30:31]
	v_fma_f64 v[152:153], v[58:59], s[12:13], v[152:153]
	v_add_f64 v[18:19], v[108:109], v[18:19]
	v_fma_f64 v[108:109], v[70:71], s[16:17], v[150:151]
	v_add_f64 v[12:13], v[8:9], v[12:13]
	v_add_f64 v[14:15], v[10:11], v[14:15]
	;; [unrolled: 1-line block ×4, first 2 shown]
	v_fma_f64 v[146:147], v[70:71], s[40:41], v[150:151]
	v_fma_f64 v[148:149], v[68:69], s[6:7], v[156:157]
	v_mul_f64 v[166:167], v[74:75], s[26:27]
	v_add_f64 v[8:9], v[144:145], v[106:107]
	v_add_f64 v[10:11], v[162:163], v[124:125]
	;; [unrolled: 1-line block ×3, first 2 shown]
	v_fma_f64 v[102:103], v[68:69], s[6:7], -v[156:157]
	v_mul_f64 v[124:125], v[72:73], s[18:19]
	v_add_f64 v[106:107], v[126:127], v[114:115]
	v_fma_f64 v[114:115], v[70:71], s[12:13], v[130:131]
	v_mul_f64 v[126:127], v[92:93], s[4:5]
	v_add_f64 v[110:111], v[158:159], v[110:111]
	v_add_f64 v[30:31], v[132:133], v[30:31]
	v_mul_f64 v[132:133], v[90:91], s[12:13]
	v_fma_f64 v[144:145], v[68:69], s[4:5], v[154:155]
	v_fma_f64 v[128:129], v[78:79], s[16:17], v[128:129]
	v_mul_f64 v[150:151], v[74:75], s[24:25]
	v_add_f64 v[18:19], v[108:109], v[18:19]
	v_fma_f64 v[108:109], v[58:59], s[26:27], v[164:165]
	v_add_f64 v[104:105], v[104:105], v[120:121]
	v_fma_f64 v[120:121], v[76:77], s[6:7], -v[138:139]
	v_add_f64 v[20:21], v[152:153], v[20:21]
	v_add_f64 v[24:25], v[136:137], v[24:25]
	;; [unrolled: 1-line block ×4, first 2 shown]
	v_fma_f64 v[136:137], v[58:59], s[20:21], v[164:165]
	v_add_f64 v[0:1], v[0:1], v[12:13]
	v_mul_f64 v[12:13], v[60:61], s[14:15]
	v_add_f64 v[28:29], v[102:103], v[28:29]
	v_fma_f64 v[102:103], v[56:57], s[0:1], -v[166:167]
	v_mul_f64 v[148:149], v[88:89], s[0:1]
	v_add_f64 v[106:107], v[114:115], v[106:107]
	v_fma_f64 v[114:115], v[58:59], s[38:39], v[124:125]
	v_fma_f64 v[138:139], v[44:45], s[30:31], v[126:127]
	v_mul_f64 v[156:157], v[86:87], s[26:27]
	v_fma_f64 v[152:153], v[84:85], s[4:5], v[132:133]
	v_add_f64 v[30:31], v[144:145], v[30:31]
	v_add_f64 v[110:111], v[128:129], v[110:111]
	v_fma_f64 v[128:129], v[56:57], s[18:19], v[150:151]
	v_fma_f64 v[130:131], v[70:71], s[30:31], v[130:131]
	v_mul_f64 v[92:93], v[92:93], s[6:7]
	v_mul_f64 v[90:91], v[90:91], s[16:17]
	v_add_f64 v[2:3], v[2:3], v[14:15]
	v_mul_f64 v[14:15], v[62:63], s[28:29]
	v_add_f64 v[108:109], v[108:109], v[18:19]
	v_add_f64 v[18:19], v[120:121], v[104:105]
	v_fma_f64 v[104:105], v[68:69], s[4:5], -v[154:155]
	v_fma_f64 v[126:127], v[44:45], s[12:13], v[126:127]
	v_fma_f64 v[132:133], v[84:85], s[4:5], -v[132:133]
	v_add_f64 v[116:117], v[136:137], v[116:117]
	v_mul_f64 v[88:89], v[88:89], s[14:15]
	v_add_f64 v[102:103], v[102:103], v[28:29]
	v_fma_f64 v[28:29], v[54:55], s[36:37], v[12:13]
	v_mul_f64 v[86:87], v[86:87], s[28:29]
	v_add_f64 v[106:107], v[114:115], v[106:107]
	v_add_f64 v[114:115], v[138:139], v[134:135]
	v_fma_f64 v[134:135], v[78:79], s[20:21], v[148:149]
	v_add_f64 v[122:123], v[152:153], v[122:123]
	v_fma_f64 v[136:137], v[76:77], s[0:1], v[156:157]
	v_fma_f64 v[144:145], v[54:55], s[28:29], v[12:13]
	v_add_f64 v[30:31], v[128:129], v[30:31]
	v_add_f64 v[110:111], v[130:131], v[110:111]
	v_fma_f64 v[128:129], v[44:45], s[40:41], v[92:93]
	v_fma_f64 v[130:131], v[84:85], s[6:7], v[90:91]
	;; [unrolled: 1-line block ×4, first 2 shown]
	v_fma_f64 v[90:91], v[84:85], s[6:7], -v[90:91]
	v_fma_f64 v[44:45], v[44:45], s[26:27], v[50:51]
	v_add_f64 v[18:19], v[104:105], v[18:19]
	v_fma_f64 v[104:105], v[52:53], s[14:15], -v[14:15]
	v_fma_f64 v[14:15], v[84:85], s[0:1], -v[48:49]
	v_mul_f64 v[92:93], v[80:81], s[18:19]
	v_mul_f64 v[50:51], v[82:83], s[24:25]
	v_add_f64 v[112:113], v[126:127], v[112:113]
	v_add_f64 v[22:23], v[132:133], v[22:23]
	v_fma_f64 v[126:127], v[78:79], s[26:27], v[148:149]
	v_fma_f64 v[132:133], v[76:77], s[0:1], -v[156:157]
	v_mul_f64 v[80:81], v[80:81], s[0:1]
	v_add_f64 v[84:85], v[134:135], v[114:115]
	v_fma_f64 v[134:135], v[78:79], s[36:37], v[88:89]
	v_add_f64 v[122:123], v[136:137], v[122:123]
	v_fma_f64 v[136:137], v[76:77], s[14:15], v[86:87]
	v_mul_f64 v[82:83], v[82:83], s[20:21]
	v_fma_f64 v[88:89], v[78:79], s[28:29], v[88:89]
	v_add_f64 v[128:129], v[128:129], v[140:141]
	v_add_f64 v[130:131], v[130:131], v[142:143]
	;; [unrolled: 1-line block ×3, first 2 shown]
	v_fma_f64 v[86:87], v[76:77], s[14:15], -v[86:87]
	v_add_f64 v[90:91], v[90:91], v[98:99]
	v_add_f64 v[26:27], v[44:45], v[26:27]
	v_fma_f64 v[42:43], v[78:79], s[30:31], v[42:43]
	v_fma_f64 v[44:45], v[76:77], s[4:5], -v[46:47]
	v_add_f64 v[14:15], v[14:15], v[96:97]
	v_fma_f64 v[98:99], v[70:71], s[38:39], v[92:93]
	v_fma_f64 v[100:101], v[68:69], s[18:19], v[50:51]
	v_mul_f64 v[78:79], v[72:73], s[6:7]
	v_fma_f64 v[92:93], v[70:71], s[24:25], v[92:93]
	v_add_f64 v[112:113], v[126:127], v[112:113]
	v_add_f64 v[22:23], v[132:133], v[22:23]
	v_fma_f64 v[50:51], v[68:69], s[18:19], -v[50:51]
	v_fma_f64 v[46:47], v[58:59], s[24:25], v[124:125]
	v_mul_f64 v[96:97], v[74:75], s[16:17]
	v_mul_f64 v[74:75], v[74:75], s[22:23]
	v_fma_f64 v[38:39], v[70:71], s[22:23], v[38:39]
	v_fma_f64 v[40:41], v[68:69], s[10:11], -v[40:41]
	v_mul_f64 v[72:73], v[72:73], s[10:11]
	v_add_f64 v[124:125], v[134:135], v[128:129]
	v_add_f64 v[126:127], v[136:137], v[130:131]
	v_fma_f64 v[128:129], v[70:71], s[26:27], v[80:81]
	v_fma_f64 v[130:131], v[68:69], s[0:1], v[82:83]
	v_add_f64 v[12:13], v[88:89], v[12:13]
	v_add_f64 v[86:87], v[86:87], v[90:91]
	v_fma_f64 v[80:81], v[70:71], s[20:21], v[80:81]
	v_fma_f64 v[82:83], v[68:69], s[0:1], -v[82:83]
	v_add_f64 v[26:27], v[42:43], v[26:27]
	v_add_f64 v[14:15], v[44:45], v[14:15]
	v_mul_f64 v[114:115], v[62:63], s[20:21]
	v_fma_f64 v[146:147], v[56:57], s[0:1], v[166:167]
	v_mul_f64 v[68:69], v[60:61], s[10:11]
	v_add_f64 v[90:91], v[92:93], v[112:113]
	v_mul_f64 v[48:49], v[60:61], s[0:1]
	v_add_f64 v[22:23], v[50:51], v[22:23]
	v_fma_f64 v[50:51], v[58:59], s[16:17], v[78:79]
	v_add_f64 v[84:85], v[98:99], v[84:85]
	v_add_f64 v[88:89], v[100:101], v[122:123]
	v_fma_f64 v[42:43], v[58:59], s[40:41], v[78:79]
	v_fma_f64 v[44:45], v[56:57], s[6:7], v[96:97]
	v_mul_f64 v[70:71], v[62:63], s[22:23]
	v_fma_f64 v[78:79], v[56:57], s[6:7], -v[96:97]
	v_fma_f64 v[100:101], v[56:57], s[10:11], v[74:75]
	v_mul_f64 v[60:61], v[60:61], s[4:5]
	v_mul_f64 v[62:63], v[62:63], s[12:13]
	v_fma_f64 v[74:75], v[56:57], s[10:11], -v[74:75]
	v_fma_f64 v[34:35], v[58:59], s[28:29], v[34:35]
	v_add_f64 v[12:13], v[80:81], v[12:13]
	v_add_f64 v[80:81], v[82:83], v[86:87]
	;; [unrolled: 1-line block ×4, first 2 shown]
	v_fma_f64 v[36:37], v[56:57], s[14:15], -v[36:37]
	v_fma_f64 v[76:77], v[56:57], s[18:19], -v[150:151]
	v_add_f64 v[92:93], v[128:129], v[124:125]
	v_add_f64 v[96:97], v[130:131], v[126:127]
	v_fma_f64 v[98:99], v[58:59], s[34:35], v[72:73]
	v_fma_f64 v[72:73], v[58:59], s[22:23], v[72:73]
	v_fma_f64 v[86:87], v[52:53], s[0:1], v[114:115]
	v_add_f64 v[118:119], v[146:147], v[118:119]
	v_fma_f64 v[16:17], v[52:53], s[6:7], -v[16:17]
	v_add_f64 v[50:51], v[50:51], v[90:91]
	v_fma_f64 v[58:59], v[54:55], s[22:23], v[68:69]
	v_fma_f64 v[120:121], v[54:55], s[16:17], v[160:161]
	;; [unrolled: 1-line block ×3, first 2 shown]
	v_add_f64 v[38:39], v[46:47], v[110:111]
	v_fma_f64 v[40:41], v[54:55], s[20:21], v[48:49]
	v_add_f64 v[42:43], v[42:43], v[84:85]
	v_add_f64 v[44:45], v[44:45], v[88:89]
	v_fma_f64 v[46:47], v[54:55], s[34:35], v[68:69]
	v_fma_f64 v[48:49], v[52:53], s[10:11], v[70:71]
	v_add_f64 v[22:23], v[78:79], v[22:23]
	v_fma_f64 v[78:79], v[54:55], s[30:31], v[60:61]
	v_fma_f64 v[84:85], v[52:53], s[4:5], v[62:63]
	v_add_f64 v[74:75], v[74:75], v[80:81]
	v_fma_f64 v[60:61], v[54:55], s[12:13], v[60:61]
	v_fma_f64 v[62:63], v[52:53], s[4:5], -v[62:63]
	v_fma_f64 v[70:71], v[52:53], s[10:11], -v[70:71]
	;; [unrolled: 1-line block ×3, first 2 shown]
	v_add_f64 v[88:89], v[34:35], v[26:27]
	v_add_f64 v[90:91], v[36:37], v[14:15]
	v_fma_f64 v[54:55], v[54:55], s[38:39], v[32:33]
	v_fma_f64 v[52:53], v[52:53], s[18:19], -v[94:95]
	v_add_f64 v[56:57], v[76:77], v[18:19]
	v_add_f64 v[68:69], v[98:99], v[92:93]
	v_add_f64 v[76:77], v[100:101], v[96:97]
	v_add_f64 v[72:73], v[72:73], v[12:13]
	v_add_f64 v[26:27], v[86:87], v[30:31]
	v_and_b32_e32 v30, 0xff, v64
	v_add_f64 v[14:15], v[16:17], v[24:25]
	v_add_f64 v[16:17], v[28:29], v[116:117]
	;; [unrolled: 1-line block ×4, first 2 shown]
	v_mul_lo_u16 v58, 0x4f, v30
	v_add_f64 v[24:25], v[82:83], v[106:107]
	v_add_f64 v[28:29], v[40:41], v[38:39]
	;; [unrolled: 1-line block ×4, first 2 shown]
	v_lshrrev_b16 v65, 10, v58
	v_add_f64 v[38:39], v[70:71], v[22:23]
	v_add_f64 v[12:13], v[120:121], v[20:21]
	v_add_f64 v[20:21], v[144:145], v[108:109]
	v_add_f64 v[22:23], v[104:105], v[102:103]
	v_add_f64 v[48:49], v[54:55], v[88:89]
	v_add_f64 v[50:51], v[52:53], v[90:91]
	v_add_f64 v[30:31], v[80:81], v[56:57]
	v_add_f64 v[40:41], v[78:79], v[68:69]
	v_add_f64 v[42:43], v[84:85], v[76:77]
	v_mad_u32_u24 v54, 0xd0, v64, 0
	v_mul_lo_u16 v52, v65, 13
	v_add_f64 v[44:45], v[60:61], v[72:73]
	v_add_f64 v[46:47], v[62:63], v[74:75]
	ds_write_b128 v54, v[0:3]
	ds_write_b128 v54, v[4:7] offset:16
	ds_write_b128 v54, v[8:11] offset:32
	;; [unrolled: 1-line block ×3, first 2 shown]
	v_sub_nc_u16 v100, v64, v52
	v_mov_b32_e32 v0, 12
	ds_write_b128 v54, v[24:27] offset:64
	ds_write_b128 v54, v[32:35] offset:80
	;; [unrolled: 1-line block ×4, first 2 shown]
	v_mul_u32_u24_sdwa v0, v100, v0 dst_sel:DWORD dst_unused:UNUSED_PAD src0_sel:BYTE_0 src1_sel:DWORD
	ds_write_b128 v54, v[36:39] offset:128
	ds_write_b128 v54, v[28:31] offset:144
	;; [unrolled: 1-line block ×5, first 2 shown]
	s_waitcnt lgkmcnt(0)
	s_barrier
	v_lshlrev_b32_e32 v0, 4, v0
	buffer_gl0_inv
	s_clause 0xb
	global_load_dwordx4 v[6:9], v0, s[8:9]
	global_load_dwordx4 v[10:13], v0, s[8:9] offset:176
	global_load_dwordx4 v[14:17], v0, s[8:9] offset:16
	;; [unrolled: 1-line block ×11, first 2 shown]
	v_mad_i32_i24 v101, 0xffffff40, v64, v54
	ds_read_b128 v[54:57], v101 offset:832
	ds_read_b128 v[58:61], v101 offset:9984
	;; [unrolled: 1-line block ×12, first 2 shown]
	ds_read_b128 v[0:3], v101
	s_waitcnt vmcnt(0) lgkmcnt(0)
	s_barrier
	buffer_gl0_inv
	v_mul_f64 v[4:5], v[54:55], v[8:9]
	v_mul_f64 v[62:63], v[58:59], v[12:13]
	;; [unrolled: 1-line block ×22, first 2 shown]
	v_fma_f64 v[56:57], v[56:57], v[6:7], v[4:5]
	v_fma_f64 v[4:5], v[60:61], v[10:11], v[62:63]
	v_fma_f64 v[136:137], v[54:55], v[6:7], -v[8:9]
	v_fma_f64 v[6:7], v[58:59], v[10:11], -v[12:13]
	v_mul_f64 v[52:53], v[116:117], v[52:53]
	v_fma_f64 v[90:91], v[68:69], v[14:15], -v[80:81]
	v_fma_f64 v[88:89], v[70:71], v[14:15], v[16:17]
	v_fma_f64 v[8:9], v[74:75], v[18:19], v[20:21]
	v_fma_f64 v[10:11], v[72:73], v[18:19], -v[82:83]
	v_fma_f64 v[60:61], v[98:99], v[34:35], v[36:37]
	v_fma_f64 v[16:17], v[104:105], v[38:39], v[126:127]
	v_fma_f64 v[18:19], v[102:103], v[38:39], -v[40:41]
	v_mul_f64 v[134:135], v[110:111], v[48:49]
	v_fma_f64 v[82:83], v[76:77], v[22:23], -v[118:119]
	v_fma_f64 v[80:81], v[78:79], v[22:23], v[24:25]
	v_fma_f64 v[76:77], v[84:85], v[26:27], -v[120:121]
	v_fma_f64 v[70:71], v[86:87], v[26:27], v[28:29]
	v_fma_f64 v[12:13], v[94:95], v[30:31], v[122:123]
	v_fma_f64 v[14:15], v[92:93], v[30:31], -v[32:33]
	v_fma_f64 v[62:63], v[96:97], v[34:35], -v[124:125]
	;; [unrolled: 1-line block ×3, first 2 shown]
	v_fma_f64 v[48:49], v[108:109], v[42:43], v[44:45]
	v_fma_f64 v[20:21], v[116:117], v[50:51], v[132:133]
	v_add_f64 v[102:103], v[56:57], -v[4:5]
	v_add_f64 v[98:99], v[0:1], v[136:137]
	v_add_f64 v[104:105], v[136:137], -v[6:7]
	v_fma_f64 v[26:27], v[114:115], v[50:51], -v[52:53]
	v_fma_f64 v[32:33], v[110:111], v[46:47], -v[130:131]
	v_add_f64 v[94:95], v[136:137], v[6:7]
	v_add_f64 v[92:93], v[56:57], v[4:5]
	v_add_f64 v[52:53], v[88:89], -v[8:9]
	v_add_f64 v[50:51], v[90:91], -v[10:11]
	v_add_f64 v[96:97], v[2:3], v[56:57]
	v_add_f64 v[24:25], v[90:91], v[10:11]
	v_fma_f64 v[34:35], v[112:113], v[46:47], v[134:135]
	v_add_f64 v[22:23], v[88:89], v[8:9]
	v_add_f64 v[38:39], v[76:77], v[18:19]
	v_add_f64 v[44:45], v[70:71], -v[16:17]
	v_add_f64 v[42:43], v[80:81], -v[12:13]
	v_add_f64 v[30:31], v[82:83], v[14:15]
	v_add_f64 v[36:37], v[82:83], -v[14:15]
	v_add_f64 v[28:29], v[80:81], v[12:13]
	;; [unrolled: 2-line block ×3, first 2 shown]
	v_mul_f64 v[106:107], v[102:103], s[40:41]
	v_mul_f64 v[110:111], v[102:103], s[26:27]
	;; [unrolled: 1-line block ×3, first 2 shown]
	v_add_f64 v[90:91], v[98:99], v[90:91]
	v_mul_f64 v[112:113], v[102:103], s[30:31]
	v_mul_f64 v[118:119], v[102:103], s[22:23]
	;; [unrolled: 1-line block ×12, first 2 shown]
	v_add_f64 v[88:89], v[96:97], v[88:89]
	v_mul_f64 v[148:149], v[50:51], s[22:23]
	v_mul_f64 v[96:97], v[52:53], s[38:39]
	;; [unrolled: 1-line block ×5, first 2 shown]
	v_fma_f64 v[166:167], v[94:95], s[6:7], -v[106:107]
	v_fma_f64 v[170:171], v[94:95], s[0:1], -v[110:111]
	v_fma_f64 v[168:169], v[92:93], s[6:7], v[108:109]
	v_add_f64 v[82:83], v[90:91], v[82:83]
	v_fma_f64 v[90:91], v[92:93], s[6:7], -v[108:109]
	v_fma_f64 v[106:107], v[94:95], s[6:7], v[106:107]
	v_fma_f64 v[110:111], v[94:95], s[0:1], v[110:111]
	v_fma_f64 v[172:173], v[94:95], s[4:5], -v[112:113]
	v_fma_f64 v[174:175], v[24:25], s[0:1], -v[114:115]
	v_fma_f64 v[176:177], v[22:23], s[0:1], v[116:117]
	v_fma_f64 v[112:113], v[94:95], s[4:5], v[112:113]
	v_fma_f64 v[178:179], v[94:95], s[10:11], -v[118:119]
	v_fma_f64 v[118:119], v[94:95], s[10:11], v[118:119]
	v_fma_f64 v[180:181], v[94:95], s[14:15], -v[120:121]
	v_fma_f64 v[108:109], v[94:95], s[14:15], v[120:121]
	v_fma_f64 v[120:121], v[92:93], s[0:1], v[122:123]
	v_fma_f64 v[182:183], v[94:95], s[18:19], -v[102:103]
	v_fma_f64 v[122:123], v[92:93], s[0:1], -v[122:123]
	v_fma_f64 v[94:95], v[94:95], s[18:19], v[102:103]
	v_add_f64 v[80:81], v[88:89], v[80:81]
	v_fma_f64 v[88:89], v[92:93], s[4:5], v[124:125]
	v_fma_f64 v[102:103], v[92:93], s[4:5], -v[124:125]
	v_fma_f64 v[124:125], v[92:93], s[10:11], v[126:127]
	v_add_f64 v[166:167], v[0:1], v[166:167]
	v_fma_f64 v[126:127], v[92:93], s[10:11], -v[126:127]
	v_fma_f64 v[184:185], v[92:93], s[14:15], v[128:129]
	v_fma_f64 v[128:129], v[92:93], s[14:15], -v[128:129]
	v_fma_f64 v[186:187], v[92:93], s[18:19], v[104:105]
	;; [unrolled: 2-line block ×3, first 2 shown]
	v_fma_f64 v[114:115], v[22:23], s[0:1], -v[116:117]
	v_fma_f64 v[116:117], v[24:25], s[10:11], -v[146:147]
	v_add_f64 v[90:91], v[2:3], v[90:91]
	v_add_f64 v[170:171], v[0:1], v[170:171]
	v_mul_f64 v[132:133], v[36:37], s[30:31]
	v_mul_f64 v[152:153], v[36:37], s[38:39]
	;; [unrolled: 1-line block ×3, first 2 shown]
	v_add_f64 v[168:169], v[2:3], v[168:169]
	v_add_f64 v[106:107], v[0:1], v[106:107]
	;; [unrolled: 1-line block ×3, first 2 shown]
	v_fma_f64 v[82:83], v[22:23], s[10:11], v[148:149]
	v_fma_f64 v[146:147], v[24:25], s[10:11], v[146:147]
	v_fma_f64 v[148:149], v[22:23], s[10:11], -v[148:149]
	v_add_f64 v[120:121], v[2:3], v[120:121]
	v_add_f64 v[70:71], v[80:81], v[70:71]
	v_fma_f64 v[80:81], v[24:25], s[18:19], -v[96:97]
	v_add_f64 v[110:111], v[0:1], v[110:111]
	v_add_f64 v[122:123], v[2:3], v[122:123]
	v_add_f64 v[166:167], v[174:175], v[166:167]
	v_fma_f64 v[174:175], v[22:23], s[18:19], v[160:161]
	v_add_f64 v[172:173], v[0:1], v[172:173]
	v_fma_f64 v[160:161], v[22:23], s[18:19], -v[160:161]
	v_add_f64 v[102:103], v[2:3], v[102:103]
	v_add_f64 v[124:125], v[2:3], v[124:125]
	;; [unrolled: 1-line block ×3, first 2 shown]
	v_fma_f64 v[114:115], v[22:23], s[14:15], v[164:165]
	v_add_f64 v[116:117], v[116:117], v[170:171]
	v_mul_f64 v[170:171], v[42:43], s[34:35]
	v_add_f64 v[56:57], v[60:61], -v[20:21]
	v_add_f64 v[58:59], v[62:63], -v[26:27]
	v_mul_f64 v[134:135], v[44:45], s[22:23]
	v_mul_f64 v[136:137], v[46:47], s[22:23]
	;; [unrolled: 1-line block ×3, first 2 shown]
	v_add_f64 v[88:89], v[2:3], v[88:89]
	v_add_f64 v[168:169], v[176:177], v[168:169]
	v_fma_f64 v[96:97], v[24:25], s[18:19], v[96:97]
	v_add_f64 v[112:113], v[0:1], v[112:113]
	v_add_f64 v[104:105], v[104:105], v[106:107]
	v_fma_f64 v[106:107], v[24:25], s[14:15], -v[162:163]
	v_add_f64 v[178:179], v[0:1], v[178:179]
	v_add_f64 v[82:83], v[82:83], v[120:121]
	v_mul_f64 v[120:121], v[36:37], s[34:35]
	v_add_f64 v[110:111], v[146:147], v[110:111]
	v_fma_f64 v[146:147], v[30:31], s[4:5], -v[130:131]
	v_add_f64 v[122:123], v[148:149], v[122:123]
	v_mul_f64 v[148:149], v[42:43], s[16:17]
	v_add_f64 v[80:81], v[80:81], v[172:173]
	v_fma_f64 v[172:173], v[28:29], s[4:5], v[132:133]
	v_fma_f64 v[130:131], v[30:31], s[4:5], v[130:131]
	v_fma_f64 v[132:133], v[28:29], s[4:5], -v[132:133]
	v_add_f64 v[102:103], v[160:161], v[102:103]
	v_fma_f64 v[160:161], v[28:29], s[18:19], v[152:153]
	v_fma_f64 v[152:153], v[28:29], s[18:19], -v[152:153]
	v_add_f64 v[114:115], v[114:115], v[124:125]
	v_fma_f64 v[124:125], v[30:31], s[10:11], -v[170:171]
	v_add_f64 v[72:73], v[62:63], v[26:27]
	v_add_f64 v[78:79], v[60:61], v[20:21]
	v_mul_f64 v[138:139], v[56:57], s[28:29]
	v_mul_f64 v[140:141], v[58:59], s[28:29]
	;; [unrolled: 1-line block ×4, first 2 shown]
	v_add_f64 v[88:89], v[174:175], v[88:89]
	v_mul_f64 v[174:175], v[36:37], s[16:17]
	v_add_f64 v[96:97], v[96:97], v[112:113]
	v_fma_f64 v[112:113], v[30:31], s[18:19], -v[150:151]
	v_add_f64 v[106:107], v[106:107], v[178:179]
	v_fma_f64 v[150:151], v[30:31], s[18:19], v[150:151]
	v_add_f64 v[62:63], v[76:77], v[62:63]
	v_fma_f64 v[76:77], v[28:29], s[10:11], v[120:121]
	v_add_f64 v[146:147], v[146:147], v[166:167]
	v_fma_f64 v[120:121], v[28:29], s[10:11], -v[120:121]
	v_add_f64 v[168:169], v[172:173], v[168:169]
	v_fma_f64 v[172:173], v[30:31], s[6:7], -v[148:149]
	v_add_f64 v[104:105], v[130:131], v[104:105]
	v_add_f64 v[90:91], v[132:133], v[90:91]
	;; [unrolled: 1-line block ×3, first 2 shown]
	v_fma_f64 v[152:153], v[38:39], s[10:11], -v[134:135]
	v_add_f64 v[80:81], v[124:125], v[80:81]
	v_fma_f64 v[124:125], v[40:41], s[10:11], v[136:137]
	v_fma_f64 v[134:135], v[38:39], s[10:11], v[134:135]
	v_fma_f64 v[136:137], v[40:41], s[10:11], -v[136:137]
	v_add_f64 v[84:85], v[48:49], -v[34:35]
	v_add_f64 v[86:87], v[54:55], -v[32:33]
	v_add_f64 v[74:75], v[54:55], v[32:33]
	v_mul_f64 v[156:157], v[56:57], s[12:13]
	v_mul_f64 v[158:159], v[58:59], s[12:13]
	v_add_f64 v[60:61], v[70:71], v[60:61]
	v_mul_f64 v[70:71], v[44:45], s[16:17]
	v_mul_f64 v[166:167], v[46:47], s[16:17]
	v_fma_f64 v[170:171], v[30:31], s[10:11], v[170:171]
	v_fma_f64 v[130:131], v[28:29], s[6:7], v[174:175]
	v_mul_f64 v[132:133], v[44:45], s[30:31]
	v_add_f64 v[112:113], v[112:113], v[116:117]
	v_mul_f64 v[116:117], v[46:47], s[30:31]
	v_add_f64 v[82:83], v[160:161], v[82:83]
	v_add_f64 v[110:111], v[150:151], v[110:111]
	;; [unrolled: 1-line block ×3, first 2 shown]
	v_fma_f64 v[120:121], v[38:39], s[14:15], -v[98:99]
	v_add_f64 v[106:107], v[172:173], v[106:107]
	v_fma_f64 v[172:173], v[40:41], s[14:15], v[154:155]
	v_add_f64 v[54:55], v[62:63], v[54:55]
	v_mul_f64 v[62:63], v[50:51], s[12:13]
	v_fma_f64 v[98:99], v[38:39], s[14:15], v[98:99]
	v_fma_f64 v[154:155], v[40:41], s[14:15], -v[154:155]
	v_add_f64 v[146:147], v[152:153], v[146:147]
	v_mul_f64 v[188:189], v[50:51], s[16:17]
	v_add_f64 v[50:51], v[124:125], v[168:169]
	v_add_f64 v[104:105], v[134:135], v[104:105]
	v_fma_f64 v[134:135], v[72:73], s[14:15], -v[138:139]
	v_add_f64 v[90:91], v[136:137], v[90:91]
	v_fma_f64 v[136:137], v[78:79], s[14:15], v[140:141]
	v_add_f64 v[68:69], v[48:49], v[34:35]
	v_mul_f64 v[142:143], v[84:85], s[38:39]
	v_mul_f64 v[144:145], v[86:87], s[38:39]
	;; [unrolled: 1-line block ×5, first 2 shown]
	v_add_f64 v[76:77], v[76:77], v[88:89]
	v_mul_f64 v[88:89], v[56:57], s[24:25]
	v_add_f64 v[96:97], v[170:171], v[96:97]
	v_mul_f64 v[170:171], v[58:59], s[24:25]
	v_add_f64 v[114:115], v[130:131], v[114:115]
	v_add_f64 v[48:49], v[60:61], v[48:49]
	v_fma_f64 v[60:61], v[38:39], s[6:7], -v[70:71]
	v_fma_f64 v[152:153], v[40:41], s[6:7], v[166:167]
	v_fma_f64 v[138:139], v[72:73], s[14:15], v[138:139]
	v_fma_f64 v[140:141], v[78:79], s[14:15], -v[140:141]
	v_add_f64 v[112:113], v[120:121], v[112:113]
	v_add_f64 v[82:83], v[172:173], v[82:83]
	;; [unrolled: 1-line block ×3, first 2 shown]
	v_fma_f64 v[110:111], v[72:73], s[4:5], -v[156:157]
	v_add_f64 v[122:123], v[154:155], v[122:123]
	v_fma_f64 v[154:155], v[78:79], s[4:5], v[158:159]
	v_fma_f64 v[166:167], v[40:41], s[6:7], -v[166:167]
	v_add_f64 v[134:135], v[134:135], v[146:147]
	v_fma_f64 v[146:147], v[38:39], s[4:5], -v[132:133]
	v_add_f64 v[50:51], v[136:137], v[50:51]
	v_fma_f64 v[136:137], v[40:41], s[4:5], v[116:117]
	v_mul_f64 v[160:161], v[56:57], s[26:27]
	v_mul_f64 v[130:131], v[52:53], s[12:13]
	v_fma_f64 v[120:121], v[74:75], s[18:19], -v[142:143]
	v_fma_f64 v[168:169], v[68:69], s[18:19], v[144:145]
	v_fma_f64 v[142:143], v[74:75], s[18:19], v[142:143]
	v_fma_f64 v[144:145], v[68:69], s[18:19], -v[144:145]
	v_fma_f64 v[70:71], v[38:39], s[6:7], v[70:71]
	v_add_f64 v[60:61], v[60:61], v[80:81]
	v_fma_f64 v[80:81], v[74:75], s[6:7], -v[176:177]
	v_add_f64 v[76:77], v[152:153], v[76:77]
	v_fma_f64 v[152:153], v[68:69], s[6:7], v[178:179]
	v_add_f64 v[104:105], v[138:139], v[104:105]
	v_add_f64 v[90:91], v[140:141], v[90:91]
	v_fma_f64 v[140:141], v[78:79], s[0:1], v[150:151]
	v_fma_f64 v[150:151], v[78:79], s[0:1], -v[150:151]
	v_add_f64 v[110:111], v[110:111], v[112:113]
	v_fma_f64 v[112:113], v[72:73], s[18:19], -v[88:89]
	v_add_f64 v[82:83], v[154:155], v[82:83]
	v_fma_f64 v[154:155], v[78:79], s[18:19], v[170:171]
	v_fma_f64 v[164:165], v[22:23], s[14:15], -v[164:165]
	v_add_f64 v[126:127], v[2:3], v[126:127]
	v_add_f64 v[102:103], v[166:167], v[102:103]
	;; [unrolled: 1-line block ×4, first 2 shown]
	v_mul_f64 v[52:53], v[52:53], s[16:17]
	v_fma_f64 v[162:163], v[24:25], s[14:15], v[162:163]
	v_add_f64 v[118:119], v[0:1], v[118:119]
	v_add_f64 v[54:55], v[54:55], v[32:33]
	v_fma_f64 v[138:139], v[72:73], s[0:1], -v[160:161]
	v_add_f64 v[146:147], v[48:49], v[34:35]
	v_add_f64 v[172:173], v[0:1], v[180:181]
	;; [unrolled: 1-line block ×18, first 2 shown]
	v_fma_f64 v[104:105], v[24:25], s[4:5], -v[130:131]
	v_fma_f64 v[106:107], v[22:23], s[4:5], v[62:63]
	v_mul_f64 v[110:111], v[42:43], s[26:27]
	v_add_f64 v[112:113], v[164:165], v[126:127]
	v_mul_f64 v[114:115], v[36:37], s[26:27]
	v_fma_f64 v[126:127], v[24:25], s[4:5], v[130:131]
	v_fma_f64 v[148:149], v[30:31], s[6:7], v[148:149]
	v_add_f64 v[118:119], v[162:163], v[118:119]
	v_fma_f64 v[130:131], v[24:25], s[6:7], -v[52:53]
	v_add_f64 v[26:27], v[54:55], v[26:27]
	v_fma_f64 v[54:55], v[22:23], s[6:7], v[188:189]
	v_mul_f64 v[42:43], v[42:43], s[28:29]
	v_fma_f64 v[24:25], v[24:25], s[6:7], v[52:53]
	v_mul_f64 v[36:37], v[36:37], s[28:29]
	v_add_f64 v[60:61], v[138:139], v[60:61]
	v_fma_f64 v[138:139], v[22:23], s[6:7], -v[188:189]
	v_add_f64 v[20:21], v[146:147], v[20:21]
	v_fma_f64 v[22:23], v[22:23], s[4:5], -v[62:63]
	v_mul_f64 v[146:147], v[44:45], s[24:25]
	v_fma_f64 v[142:143], v[28:29], s[6:7], -v[174:175]
	v_fma_f64 v[132:133], v[38:39], s[4:5], v[132:133]
	v_mul_f64 v[44:45], v[44:45], s[20:21]
	v_add_f64 v[104:105], v[104:105], v[172:173]
	v_add_f64 v[106:107], v[106:107], v[180:181]
	v_fma_f64 v[144:145], v[30:31], s[0:1], -v[110:111]
	v_fma_f64 v[110:111], v[30:31], s[0:1], v[110:111]
	v_fma_f64 v[62:63], v[28:29], s[0:1], v[114:115]
	v_add_f64 v[108:109], v[126:127], v[108:109]
	v_mul_f64 v[126:127], v[46:47], s[24:25]
	v_add_f64 v[118:119], v[148:149], v[118:119]
	v_add_f64 v[128:129], v[130:131], v[128:129]
	v_mul_f64 v[46:47], v[46:47], s[20:21]
	v_add_f64 v[54:55], v[54:55], v[136:137]
	v_fma_f64 v[136:137], v[30:31], s[14:15], -v[42:43]
	v_add_f64 v[24:25], v[24:25], v[94:95]
	v_fma_f64 v[94:95], v[28:29], s[14:15], v[36:37]
	v_fma_f64 v[30:31], v[30:31], s[14:15], v[42:43]
	v_add_f64 v[92:93], v[138:139], v[92:93]
	v_fma_f64 v[36:37], v[28:29], s[14:15], -v[36:37]
	v_add_f64 v[18:19], v[26:27], v[18:19]
	v_add_f64 v[16:17], v[20:21], v[16:17]
	;; [unrolled: 1-line block ×3, first 2 shown]
	v_fma_f64 v[22:23], v[28:29], s[0:1], -v[114:115]
	v_add_f64 v[42:43], v[142:143], v[112:113]
	v_mul_f64 v[124:125], v[84:85], s[28:29]
	v_mul_f64 v[80:81], v[86:87], s[28:29]
	v_add_f64 v[26:27], v[144:145], v[104:105]
	v_mul_f64 v[104:105], v[56:57], s[16:17]
	v_add_f64 v[28:29], v[62:63], v[106:107]
	v_fma_f64 v[62:63], v[38:39], s[18:19], -v[146:147]
	v_fma_f64 v[96:97], v[40:41], s[18:19], v[126:127]
	v_mul_f64 v[106:107], v[58:59], s[16:17]
	v_add_f64 v[112:113], v[132:133], v[118:119]
	v_add_f64 v[108:109], v[110:111], v[108:109]
	v_fma_f64 v[110:111], v[38:39], s[18:19], v[146:147]
	v_add_f64 v[114:115], v[136:137], v[128:129]
	v_fma_f64 v[118:119], v[40:41], s[0:1], v[46:47]
	v_add_f64 v[54:55], v[94:95], v[54:55]
	v_fma_f64 v[94:95], v[38:39], s[0:1], -v[44:45]
	v_mul_f64 v[56:57], v[56:57], s[22:23]
	v_mul_f64 v[58:59], v[58:59], s[22:23]
	v_add_f64 v[24:25], v[30:31], v[24:25]
	v_add_f64 v[30:31], v[36:37], v[92:93]
	v_fma_f64 v[36:37], v[38:39], s[0:1], v[44:45]
	v_fma_f64 v[38:39], v[40:41], s[0:1], -v[46:47]
	v_add_f64 v[14:15], v[18:19], v[14:15]
	v_add_f64 v[18:19], v[22:23], v[20:21]
	v_fma_f64 v[20:21], v[40:41], s[18:19], -v[126:127]
	v_fma_f64 v[44:45], v[40:41], s[4:5], -v[116:117]
	v_add_f64 v[12:13], v[16:17], v[12:13]
	v_mul_f64 v[130:131], v[84:85], s[20:21]
	v_mul_f64 v[138:139], v[86:87], s[20:21]
	v_fma_f64 v[46:47], v[72:73], s[18:19], v[88:89]
	v_add_f64 v[16:17], v[62:63], v[26:27]
	v_add_f64 v[22:23], v[96:97], v[28:29]
	v_fma_f64 v[26:27], v[72:73], s[6:7], -v[104:105]
	v_fma_f64 v[28:29], v[78:79], s[6:7], v[106:107]
	v_mul_f64 v[40:41], v[84:85], s[22:23]
	v_mul_f64 v[62:63], v[86:87], s[22:23]
	v_add_f64 v[88:89], v[110:111], v[108:109]
	v_fma_f64 v[92:93], v[72:73], s[6:7], v[104:105]
	v_add_f64 v[94:95], v[94:95], v[114:115]
	v_add_f64 v[54:55], v[118:119], v[54:55]
	v_fma_f64 v[96:97], v[72:73], s[10:11], -v[56:57]
	v_fma_f64 v[104:105], v[78:79], s[10:11], v[58:59]
	v_mul_f64 v[84:85], v[84:85], s[12:13]
	v_mul_f64 v[86:87], v[86:87], s[12:13]
	v_add_f64 v[24:25], v[36:37], v[24:25]
	v_add_f64 v[30:31], v[38:39], v[30:31]
	v_fma_f64 v[36:37], v[72:73], s[10:11], v[56:57]
	v_fma_f64 v[38:39], v[78:79], s[10:11], -v[58:59]
	v_add_f64 v[18:19], v[20:21], v[18:19]
	v_fma_f64 v[20:21], v[78:79], s[6:7], -v[106:107]
	v_add_f64 v[42:43], v[44:45], v[42:43]
	v_fma_f64 v[44:45], v[78:79], s[18:19], -v[170:171]
	v_fma_f64 v[160:161], v[72:73], s[0:1], v[160:161]
	v_fma_f64 v[156:157], v[72:73], s[4:5], v[156:157]
	v_fma_f64 v[158:159], v[78:79], s[4:5], -v[158:159]
	v_add_f64 v[78:79], v[14:15], v[10:11]
	v_add_f64 v[106:107], v[12:13], v[8:9]
	;; [unrolled: 1-line block ×3, first 2 shown]
	v_fma_f64 v[52:53], v[74:75], s[14:15], -v[124:125]
	v_fma_f64 v[140:141], v[68:69], s[14:15], v[80:81]
	v_fma_f64 v[56:57], v[74:75], s[0:1], -v[130:131]
	v_fma_f64 v[58:59], v[68:69], s[0:1], v[138:139]
	v_add_f64 v[46:47], v[46:47], v[112:113]
	v_add_f64 v[26:27], v[26:27], v[16:17]
	;; [unrolled: 1-line block ×3, first 2 shown]
	v_fma_f64 v[110:111], v[74:75], s[10:11], -v[40:41]
	v_fma_f64 v[112:113], v[68:69], s[10:11], v[62:63]
	v_add_f64 v[88:89], v[92:93], v[88:89]
	v_fma_f64 v[40:41], v[74:75], s[10:11], v[40:41]
	v_add_f64 v[92:93], v[96:97], v[94:95]
	v_add_f64 v[54:55], v[104:105], v[54:55]
	v_fma_f64 v[94:95], v[74:75], s[4:5], -v[84:85]
	v_fma_f64 v[96:97], v[68:69], s[4:5], v[86:87]
	v_add_f64 v[32:33], v[120:121], v[134:135]
	v_fma_f64 v[120:121], v[74:75], s[6:7], v[176:177]
	v_fma_f64 v[124:125], v[74:75], s[14:15], v[124:125]
	;; [unrolled: 1-line block ×3, first 2 shown]
	v_add_f64 v[104:105], v[36:37], v[24:25]
	v_add_f64 v[38:39], v[38:39], v[30:31]
	v_fma_f64 v[74:75], v[74:75], s[4:5], v[84:85]
	v_fma_f64 v[84:85], v[68:69], s[4:5], -v[86:87]
	v_add_f64 v[18:19], v[20:21], v[18:19]
	v_fma_f64 v[62:63], v[68:69], s[10:11], -v[62:63]
	v_add_f64 v[86:87], v[44:45], v[42:43]
	;; [unrolled: 2-line block ×3, first 2 shown]
	v_fma_f64 v[134:135], v[68:69], s[6:7], -v[178:179]
	v_fma_f64 v[68:69], v[68:69], s[14:15], -v[80:81]
	v_add_f64 v[98:99], v[156:157], v[98:99]
	v_add_f64 v[122:123], v[158:159], v[122:123]
	;; [unrolled: 1-line block ×16, first 2 shown]
	v_mov_b32_e32 v52, 0xa90
	v_mov_b32_e32 v53, 4
	v_add_f64 v[38:39], v[62:63], v[18:19]
	v_add_f64 v[26:27], v[114:115], v[86:87]
	;; [unrolled: 1-line block ×6, first 2 shown]
	v_mul_u32_u24_sdwa v52, v65, v52 dst_sel:DWORD dst_unused:UNUSED_PAD src0_sel:WORD_0 src1_sel:DWORD
	v_lshlrev_b32_sdwa v53, v53, v100 dst_sel:DWORD dst_unused:UNUSED_PAD src0_sel:DWORD src1_sel:BYTE_0
	v_cmp_gt_u32_e64 s0, 13, v64
	v_add3_u32 v52, 0, v52, v53
	ds_write_b128 v52, v[28:31]
	ds_write_b128 v52, v[32:35] offset:208
	ds_write_b128 v52, v[48:51] offset:416
	;; [unrolled: 1-line block ×12, first 2 shown]
	s_waitcnt lgkmcnt(0)
	s_barrier
	buffer_gl0_inv
	ds_read_b128 v[20:23], v101
	ds_read_b128 v[16:19], v101 offset:832
	ds_read_b128 v[40:43], v101 offset:5408
	;; [unrolled: 1-line block ×11, first 2 shown]
                                        ; implicit-def: $vgpr6_vgpr7
                                        ; implicit-def: $vgpr10_vgpr11
                                        ; implicit-def: $vgpr14_vgpr15
	s_and_saveexec_b32 s1, s0
	s_cbranch_execz .LBB0_13
; %bb.12:
	ds_read_b128 v[0:3], v101 offset:2496
	ds_read_b128 v[4:7], v101 offset:5200
	;; [unrolled: 1-line block ×4, first 2 shown]
.LBB0_13:
	s_or_b32 exec_lo, exec_lo, s1
	s_and_saveexec_b32 s1, vcc_lo
	s_cbranch_execz .LBB0_16
; %bb.14:
	v_add_nc_u32_e32 v65, 0x68, v64
	v_mul_u32_u24_e32 v71, 3, v64
	v_mov_b32_e32 v69, 0
	v_mul_u32_u24_e32 v68, 3, v65
	v_lshlrev_b32_e32 v73, 4, v71
	v_lshlrev_b32_e32 v70, 4, v68
	v_mad_u32_u24 v68, v65, 3, 0xffffff64
	v_add_co_u32 v70, s1, s8, v70
	v_add_co_ci_u32_e64 v72, null, s9, 0, s1
	v_add_co_u32 v84, s1, s8, v73
	v_add_co_u32 v78, vcc_lo, 0x9c0, v70
	v_add_co_ci_u32_e32 v79, vcc_lo, 0, v72, vcc_lo
	v_add_co_u32 v70, vcc_lo, 0x800, v70
	v_add_co_ci_u32_e64 v85, null, s9, 0, s1
	v_add_co_ci_u32_e32 v71, vcc_lo, 0, v72, vcc_lo
	v_lshlrev_b64 v[82:83], 4, v[68:69]
	v_add_co_u32 v90, vcc_lo, 0x9c0, v84
	v_add_co_ci_u32_e32 v91, vcc_lo, 0, v85, vcc_lo
	v_add_co_u32 v84, vcc_lo, 0x800, v84
	v_add_co_ci_u32_e32 v85, vcc_lo, 0, v85, vcc_lo
	;; [unrolled: 2-line block ×3, first 2 shown]
	s_clause 0x2
	global_load_dwordx4 v[70:73], v[70:71], off offset:448
	global_load_dwordx4 v[74:77], v[78:79], off offset:32
	;; [unrolled: 1-line block ×3, first 2 shown]
	v_add_co_u32 v102, vcc_lo, 0x9c0, v68
	v_add_co_ci_u32_e32 v103, vcc_lo, 0, v94, vcc_lo
	v_add_co_u32 v98, vcc_lo, 0x800, v68
	v_add_co_ci_u32_e32 v99, vcc_lo, 0, v94, vcc_lo
	s_clause 0x5
	global_load_dwordx4 v[82:85], v[84:85], off offset:448
	global_load_dwordx4 v[86:89], v[90:91], off offset:32
	global_load_dwordx4 v[90:93], v[90:91], off offset:16
	global_load_dwordx4 v[94:97], v[102:103], off offset:16
	global_load_dwordx4 v[98:101], v[98:99], off offset:448
	global_load_dwordx4 v[102:105], v[102:103], off offset:32
	s_waitcnt vmcnt(8) lgkmcnt(4)
	v_mul_f64 v[114:115], v[46:47], v[72:73]
	s_waitcnt vmcnt(7) lgkmcnt(0)
	v_mul_f64 v[116:117], v[58:59], v[76:77]
	s_waitcnt vmcnt(6)
	v_mul_f64 v[112:113], v[54:55], v[78:79]
	v_mul_f64 v[54:55], v[54:55], v[80:81]
	;; [unrolled: 1-line block ×4, first 2 shown]
	s_waitcnt vmcnt(5)
	v_mul_f64 v[108:109], v[50:51], v[84:85]
	s_waitcnt vmcnt(4)
	v_mul_f64 v[110:111], v[62:63], v[88:89]
	;; [unrolled: 2-line block ×3, first 2 shown]
	v_mul_f64 v[42:43], v[42:43], v[92:93]
	v_mul_f64 v[84:85], v[48:49], v[84:85]
	;; [unrolled: 1-line block ×3, first 2 shown]
	s_waitcnt vmcnt(2)
	v_mul_f64 v[118:119], v[30:31], v[94:95]
	s_waitcnt vmcnt(1)
	v_mul_f64 v[120:121], v[34:35], v[100:101]
	v_mul_f64 v[100:101], v[32:33], v[100:101]
	s_waitcnt vmcnt(0)
	v_mul_f64 v[122:123], v[36:37], v[104:105]
	v_mul_f64 v[30:31], v[30:31], v[96:97]
	;; [unrolled: 1-line block ×3, first 2 shown]
	v_fma_f64 v[44:45], v[44:45], v[70:71], -v[114:115]
	v_fma_f64 v[56:57], v[56:57], v[74:75], -v[116:117]
	v_fma_f64 v[46:47], v[46:47], v[70:71], v[72:73]
	v_fma_f64 v[48:49], v[48:49], v[82:83], -v[108:109]
	v_fma_f64 v[60:61], v[60:61], v[86:87], -v[110:111]
	v_fma_f64 v[92:93], v[40:41], v[92:93], v[106:107]
	v_fma_f64 v[40:41], v[40:41], v[90:91], -v[42:43]
	v_fma_f64 v[42:43], v[50:51], v[82:83], v[84:85]
	v_fma_f64 v[50:51], v[62:63], v[86:87], v[88:89]
	;; [unrolled: 1-line block ×3, first 2 shown]
	v_fma_f64 v[52:53], v[52:53], v[78:79], -v[54:55]
	v_fma_f64 v[54:55], v[58:59], v[74:75], v[76:77]
	v_fma_f64 v[58:59], v[28:29], v[96:97], v[118:119]
	v_fma_f64 v[32:33], v[32:33], v[98:99], -v[120:121]
	v_fma_f64 v[34:35], v[34:35], v[98:99], v[100:101]
	v_fma_f64 v[38:39], v[38:39], v[102:103], v[122:123]
	v_fma_f64 v[28:29], v[28:29], v[94:95], -v[30:31]
	v_fma_f64 v[30:31], v[36:37], v[102:103], -v[104:105]
	v_add_f64 v[70:71], v[22:23], -v[92:93]
	v_add_f64 v[72:73], v[20:21], -v[40:41]
	;; [unrolled: 1-line block ×12, first 2 shown]
	v_mul_hi_u32 v30, 0x60f25deb, v65
	v_mov_b32_e32 v65, v69
	v_add_co_u32 v31, vcc_lo, s2, v66
	v_add_co_ci_u32_e32 v67, vcc_lo, s3, v67, vcc_lo
	v_lshlrev_b64 v[28:29], 4, v[64:65]
	v_lshrrev_b32_e32 v30, 6, v30
	v_fma_f64 v[65:66], v[22:23], 2.0, -v[70:71]
	v_fma_f64 v[74:75], v[20:21], 2.0, -v[72:73]
	;; [unrolled: 1-line block ×12, first 2 shown]
	v_add_f64 v[26:27], v[70:71], v[40:41]
	v_add_f64 v[24:25], v[72:73], -v[36:37]
	v_add_co_u32 v16, vcc_lo, v31, v28
	v_add_f64 v[34:35], v[56:57], v[58:59]
	v_add_f64 v[32:33], v[62:63], -v[38:39]
	v_add_co_ci_u32_e32 v17, vcc_lo, v67, v29, vcc_lo
	v_mul_u32_u24_e32 v68, 0x1fb, v30
	v_add_f64 v[30:31], v[60:61], v[54:55]
	v_add_f64 v[28:29], v[52:53], -v[50:51]
	v_add_co_u32 v18, vcc_lo, 0x800, v16
	v_add_f64 v[38:39], v[65:66], -v[22:23]
	v_add_f64 v[36:37], v[74:75], -v[42:43]
	v_add_f64 v[42:43], v[76:77], -v[46:47]
	v_add_co_ci_u32_e32 v19, vcc_lo, 0, v17, vcc_lo
	v_add_f64 v[40:41], v[78:79], -v[44:45]
	v_add_f64 v[46:47], v[80:81], -v[48:49]
	v_add_co_u32 v20, vcc_lo, 0x1000, v16
	v_add_f64 v[44:45], v[82:83], -v[84:85]
	v_add_co_ci_u32_e32 v21, vcc_lo, 0, v17, vcc_lo
	v_add_co_u32 v22, vcc_lo, 0x1800, v16
	v_lshlrev_b64 v[48:49], 4, v[68:69]
	v_add_co_ci_u32_e32 v23, vcc_lo, 0, v17, vcc_lo
	v_add_co_u32 v84, vcc_lo, 0x2000, v16
	v_add_co_ci_u32_e32 v85, vcc_lo, 0, v17, vcc_lo
	v_add_co_u32 v86, vcc_lo, v16, v48
	v_add_co_ci_u32_e32 v87, vcc_lo, v17, v49, vcc_lo
	v_fma_f64 v[50:51], v[70:71], 2.0, -v[26:27]
	v_fma_f64 v[48:49], v[72:73], 2.0, -v[24:25]
	;; [unrolled: 1-line block ×12, first 2 shown]
	v_add_co_u32 v74, vcc_lo, 0x1000, v86
	v_add_co_ci_u32_e32 v75, vcc_lo, 0, v87, vcc_lo
	v_add_co_u32 v76, vcc_lo, 0x1800, v86
	v_add_co_ci_u32_e32 v77, vcc_lo, 0, v87, vcc_lo
	;; [unrolled: 2-line block ×3, first 2 shown]
	global_store_dwordx4 v[22:23], v[24:27], off offset:1968
	global_store_dwordx4 v[84:85], v[32:35], off offset:752
	;; [unrolled: 1-line block ×8, first 2 shown]
	global_store_dwordx4 v[16:17], v[60:63], off
	global_store_dwordx4 v[86:87], v[65:68], off offset:1664
	global_store_dwordx4 v[16:17], v[70:73], off offset:832
	;; [unrolled: 1-line block ×3, first 2 shown]
	s_and_b32 exec_lo, exec_lo, s0
	s_cbranch_execz .LBB0_16
; %bb.15:
	v_cndmask_b32_e64 v24, -13, 0x9c, s0
	v_add_nc_u32_e32 v24, v64, v24
	v_mul_i32_i24_e32 v68, 3, v24
	v_lshlrev_b64 v[24:25], 4, v[68:69]
	v_add_co_u32 v26, vcc_lo, s8, v24
	v_add_co_ci_u32_e32 v27, vcc_lo, s9, v25, vcc_lo
	v_add_co_u32 v24, vcc_lo, 0x800, v26
	v_add_co_ci_u32_e32 v25, vcc_lo, 0, v27, vcc_lo
	;; [unrolled: 2-line block ×3, first 2 shown]
	v_add_co_u32 v16, vcc_lo, 0x2800, v16
	s_clause 0x2
	global_load_dwordx4 v[24:27], v[24:25], off offset:448
	global_load_dwordx4 v[28:31], v[32:33], off offset:16
	;; [unrolled: 1-line block ×3, first 2 shown]
	v_add_co_ci_u32_e32 v17, vcc_lo, 0, v17, vcc_lo
	s_waitcnt vmcnt(2)
	v_mul_f64 v[36:37], v[6:7], v[26:27]
	v_mul_f64 v[26:27], v[4:5], v[26:27]
	s_waitcnt vmcnt(1)
	v_mul_f64 v[38:39], v[10:11], v[30:31]
	v_mul_f64 v[30:31], v[8:9], v[30:31]
	;; [unrolled: 3-line block ×3, first 2 shown]
	v_fma_f64 v[4:5], v[4:5], v[24:25], -v[36:37]
	v_fma_f64 v[6:7], v[6:7], v[24:25], v[26:27]
	v_fma_f64 v[8:9], v[8:9], v[28:29], -v[38:39]
	v_fma_f64 v[10:11], v[10:11], v[28:29], v[30:31]
	;; [unrolled: 2-line block ×3, first 2 shown]
	v_add_f64 v[8:9], v[0:1], -v[8:9]
	v_add_f64 v[10:11], v[2:3], -v[10:11]
	;; [unrolled: 1-line block ×4, first 2 shown]
	v_fma_f64 v[24:25], v[0:1], 2.0, -v[8:9]
	v_fma_f64 v[26:27], v[2:3], 2.0, -v[10:11]
	;; [unrolled: 1-line block ×4, first 2 shown]
	v_add_f64 v[0:1], v[8:9], -v[14:15]
	v_add_f64 v[2:3], v[10:11], v[12:13]
	v_add_f64 v[4:5], v[24:25], -v[4:5]
	v_add_f64 v[6:7], v[26:27], -v[6:7]
	v_fma_f64 v[8:9], v[8:9], 2.0, -v[0:1]
	v_fma_f64 v[10:11], v[10:11], 2.0, -v[2:3]
	;; [unrolled: 1-line block ×4, first 2 shown]
	global_store_dwordx4 v[20:21], v[8:11], off offset:1104
	global_store_dwordx4 v[22:23], v[4:7], off offset:1760
	;; [unrolled: 1-line block ×4, first 2 shown]
.LBB0_16:
	s_endpgm
	.section	.rodata,"a",@progbits
	.p2align	6, 0x0
	.amdhsa_kernel fft_rtc_fwd_len676_factors_13_13_4_wgs_52_tpt_52_dp_ip_CI_unitstride_sbrr_dirReg
		.amdhsa_group_segment_fixed_size 0
		.amdhsa_private_segment_fixed_size 0
		.amdhsa_kernarg_size 88
		.amdhsa_user_sgpr_count 6
		.amdhsa_user_sgpr_private_segment_buffer 1
		.amdhsa_user_sgpr_dispatch_ptr 0
		.amdhsa_user_sgpr_queue_ptr 0
		.amdhsa_user_sgpr_kernarg_segment_ptr 1
		.amdhsa_user_sgpr_dispatch_id 0
		.amdhsa_user_sgpr_flat_scratch_init 0
		.amdhsa_user_sgpr_private_segment_size 0
		.amdhsa_wavefront_size32 1
		.amdhsa_uses_dynamic_stack 0
		.amdhsa_system_sgpr_private_segment_wavefront_offset 0
		.amdhsa_system_sgpr_workgroup_id_x 1
		.amdhsa_system_sgpr_workgroup_id_y 0
		.amdhsa_system_sgpr_workgroup_id_z 0
		.amdhsa_system_sgpr_workgroup_info 0
		.amdhsa_system_vgpr_workitem_id 0
		.amdhsa_next_free_vgpr 190
		.amdhsa_next_free_sgpr 42
		.amdhsa_reserve_vcc 1
		.amdhsa_reserve_flat_scratch 0
		.amdhsa_float_round_mode_32 0
		.amdhsa_float_round_mode_16_64 0
		.amdhsa_float_denorm_mode_32 3
		.amdhsa_float_denorm_mode_16_64 3
		.amdhsa_dx10_clamp 1
		.amdhsa_ieee_mode 1
		.amdhsa_fp16_overflow 0
		.amdhsa_workgroup_processor_mode 1
		.amdhsa_memory_ordered 1
		.amdhsa_forward_progress 0
		.amdhsa_shared_vgpr_count 0
		.amdhsa_exception_fp_ieee_invalid_op 0
		.amdhsa_exception_fp_denorm_src 0
		.amdhsa_exception_fp_ieee_div_zero 0
		.amdhsa_exception_fp_ieee_overflow 0
		.amdhsa_exception_fp_ieee_underflow 0
		.amdhsa_exception_fp_ieee_inexact 0
		.amdhsa_exception_int_div_zero 0
	.end_amdhsa_kernel
	.text
.Lfunc_end0:
	.size	fft_rtc_fwd_len676_factors_13_13_4_wgs_52_tpt_52_dp_ip_CI_unitstride_sbrr_dirReg, .Lfunc_end0-fft_rtc_fwd_len676_factors_13_13_4_wgs_52_tpt_52_dp_ip_CI_unitstride_sbrr_dirReg
                                        ; -- End function
	.section	.AMDGPU.csdata,"",@progbits
; Kernel info:
; codeLenInByte = 10972
; NumSgprs: 44
; NumVgprs: 190
; ScratchSize: 0
; MemoryBound: 1
; FloatMode: 240
; IeeeMode: 1
; LDSByteSize: 0 bytes/workgroup (compile time only)
; SGPRBlocks: 5
; VGPRBlocks: 23
; NumSGPRsForWavesPerEU: 44
; NumVGPRsForWavesPerEU: 190
; Occupancy: 5
; WaveLimiterHint : 1
; COMPUTE_PGM_RSRC2:SCRATCH_EN: 0
; COMPUTE_PGM_RSRC2:USER_SGPR: 6
; COMPUTE_PGM_RSRC2:TRAP_HANDLER: 0
; COMPUTE_PGM_RSRC2:TGID_X_EN: 1
; COMPUTE_PGM_RSRC2:TGID_Y_EN: 0
; COMPUTE_PGM_RSRC2:TGID_Z_EN: 0
; COMPUTE_PGM_RSRC2:TIDIG_COMP_CNT: 0
	.text
	.p2alignl 6, 3214868480
	.fill 48, 4, 3214868480
	.type	__hip_cuid_9343a284b4526327,@object ; @__hip_cuid_9343a284b4526327
	.section	.bss,"aw",@nobits
	.globl	__hip_cuid_9343a284b4526327
__hip_cuid_9343a284b4526327:
	.byte	0                               ; 0x0
	.size	__hip_cuid_9343a284b4526327, 1

	.ident	"AMD clang version 19.0.0git (https://github.com/RadeonOpenCompute/llvm-project roc-6.4.0 25133 c7fe45cf4b819c5991fe208aaa96edf142730f1d)"
	.section	".note.GNU-stack","",@progbits
	.addrsig
	.addrsig_sym __hip_cuid_9343a284b4526327
	.amdgpu_metadata
---
amdhsa.kernels:
  - .args:
      - .actual_access:  read_only
        .address_space:  global
        .offset:         0
        .size:           8
        .value_kind:     global_buffer
      - .offset:         8
        .size:           8
        .value_kind:     by_value
      - .actual_access:  read_only
        .address_space:  global
        .offset:         16
        .size:           8
        .value_kind:     global_buffer
      - .actual_access:  read_only
        .address_space:  global
        .offset:         24
        .size:           8
        .value_kind:     global_buffer
      - .offset:         32
        .size:           8
        .value_kind:     by_value
      - .actual_access:  read_only
        .address_space:  global
        .offset:         40
        .size:           8
        .value_kind:     global_buffer
      - .actual_access:  read_only
        .address_space:  global
        .offset:         48
        .size:           8
        .value_kind:     global_buffer
      - .offset:         56
        .size:           4
        .value_kind:     by_value
      - .actual_access:  read_only
        .address_space:  global
        .offset:         64
        .size:           8
        .value_kind:     global_buffer
      - .actual_access:  read_only
        .address_space:  global
        .offset:         72
        .size:           8
        .value_kind:     global_buffer
      - .address_space:  global
        .offset:         80
        .size:           8
        .value_kind:     global_buffer
    .group_segment_fixed_size: 0
    .kernarg_segment_align: 8
    .kernarg_segment_size: 88
    .language:       OpenCL C
    .language_version:
      - 2
      - 0
    .max_flat_workgroup_size: 52
    .name:           fft_rtc_fwd_len676_factors_13_13_4_wgs_52_tpt_52_dp_ip_CI_unitstride_sbrr_dirReg
    .private_segment_fixed_size: 0
    .sgpr_count:     44
    .sgpr_spill_count: 0
    .symbol:         fft_rtc_fwd_len676_factors_13_13_4_wgs_52_tpt_52_dp_ip_CI_unitstride_sbrr_dirReg.kd
    .uniform_work_group_size: 1
    .uses_dynamic_stack: false
    .vgpr_count:     190
    .vgpr_spill_count: 0
    .wavefront_size: 32
    .workgroup_processor_mode: 1
amdhsa.target:   amdgcn-amd-amdhsa--gfx1030
amdhsa.version:
  - 1
  - 2
...

	.end_amdgpu_metadata
